;; amdgpu-corpus repo=ROCm/rocFFT kind=compiled arch=gfx906 opt=O3
	.text
	.amdgcn_target "amdgcn-amd-amdhsa--gfx906"
	.amdhsa_code_object_version 6
	.protected	fft_rtc_fwd_len550_factors_11_10_5_wgs_55_tpt_55_sp_op_CI_CI_unitstride_sbrr_R2C_dirReg ; -- Begin function fft_rtc_fwd_len550_factors_11_10_5_wgs_55_tpt_55_sp_op_CI_CI_unitstride_sbrr_R2C_dirReg
	.globl	fft_rtc_fwd_len550_factors_11_10_5_wgs_55_tpt_55_sp_op_CI_CI_unitstride_sbrr_R2C_dirReg
	.p2align	8
	.type	fft_rtc_fwd_len550_factors_11_10_5_wgs_55_tpt_55_sp_op_CI_CI_unitstride_sbrr_R2C_dirReg,@function
fft_rtc_fwd_len550_factors_11_10_5_wgs_55_tpt_55_sp_op_CI_CI_unitstride_sbrr_R2C_dirReg: ; @fft_rtc_fwd_len550_factors_11_10_5_wgs_55_tpt_55_sp_op_CI_CI_unitstride_sbrr_R2C_dirReg
; %bb.0:
	s_load_dwordx4 s[8:11], s[4:5], 0x58
	s_load_dwordx4 s[12:15], s[4:5], 0x0
	;; [unrolled: 1-line block ×3, first 2 shown]
	v_mul_u32_u24_e32 v1, 0x4a8, v0
	v_add_u32_sdwa v5, s6, v1 dst_sel:DWORD dst_unused:UNUSED_PAD src0_sel:DWORD src1_sel:WORD_1
	v_mov_b32_e32 v3, 0
	s_waitcnt lgkmcnt(0)
	v_cmp_lt_u64_e64 s[0:1], s[14:15], 2
	v_mov_b32_e32 v1, 0
	v_mov_b32_e32 v6, v3
	s_and_b64 vcc, exec, s[0:1]
	v_mov_b32_e32 v2, 0
	s_cbranch_vccnz .LBB0_8
; %bb.1:
	s_load_dwordx2 s[0:1], s[4:5], 0x10
	s_add_u32 s2, s18, 8
	s_addc_u32 s3, s19, 0
	s_add_u32 s6, s16, 8
	v_mov_b32_e32 v1, 0
	s_addc_u32 s7, s17, 0
	v_mov_b32_e32 v2, 0
	s_waitcnt lgkmcnt(0)
	s_add_u32 s20, s0, 8
	v_mov_b32_e32 v21, v2
	s_addc_u32 s21, s1, 0
	s_mov_b64 s[22:23], 1
	v_mov_b32_e32 v20, v1
.LBB0_2:                                ; =>This Inner Loop Header: Depth=1
	s_load_dwordx2 s[24:25], s[20:21], 0x0
                                        ; implicit-def: $vgpr22_vgpr23
	s_waitcnt lgkmcnt(0)
	v_or_b32_e32 v4, s25, v6
	v_cmp_ne_u64_e32 vcc, 0, v[3:4]
	s_and_saveexec_b64 s[0:1], vcc
	s_xor_b64 s[26:27], exec, s[0:1]
	s_cbranch_execz .LBB0_4
; %bb.3:                                ;   in Loop: Header=BB0_2 Depth=1
	v_cvt_f32_u32_e32 v4, s24
	v_cvt_f32_u32_e32 v7, s25
	s_sub_u32 s0, 0, s24
	s_subb_u32 s1, 0, s25
	v_mac_f32_e32 v4, 0x4f800000, v7
	v_rcp_f32_e32 v4, v4
	v_mul_f32_e32 v4, 0x5f7ffffc, v4
	v_mul_f32_e32 v7, 0x2f800000, v4
	v_trunc_f32_e32 v7, v7
	v_mac_f32_e32 v4, 0xcf800000, v7
	v_cvt_u32_f32_e32 v7, v7
	v_cvt_u32_f32_e32 v4, v4
	v_mul_lo_u32 v8, s0, v7
	v_mul_hi_u32 v9, s0, v4
	v_mul_lo_u32 v11, s1, v4
	v_mul_lo_u32 v10, s0, v4
	v_add_u32_e32 v8, v9, v8
	v_add_u32_e32 v8, v8, v11
	v_mul_hi_u32 v9, v4, v10
	v_mul_lo_u32 v11, v4, v8
	v_mul_hi_u32 v13, v4, v8
	v_mul_hi_u32 v12, v7, v10
	v_mul_lo_u32 v10, v7, v10
	v_mul_hi_u32 v14, v7, v8
	v_add_co_u32_e32 v9, vcc, v9, v11
	v_addc_co_u32_e32 v11, vcc, 0, v13, vcc
	v_mul_lo_u32 v8, v7, v8
	v_add_co_u32_e32 v9, vcc, v9, v10
	v_addc_co_u32_e32 v9, vcc, v11, v12, vcc
	v_addc_co_u32_e32 v10, vcc, 0, v14, vcc
	v_add_co_u32_e32 v8, vcc, v9, v8
	v_addc_co_u32_e32 v9, vcc, 0, v10, vcc
	v_add_co_u32_e32 v4, vcc, v4, v8
	v_addc_co_u32_e32 v7, vcc, v7, v9, vcc
	v_mul_lo_u32 v8, s0, v7
	v_mul_hi_u32 v9, s0, v4
	v_mul_lo_u32 v10, s1, v4
	v_mul_lo_u32 v11, s0, v4
	v_add_u32_e32 v8, v9, v8
	v_add_u32_e32 v8, v8, v10
	v_mul_lo_u32 v12, v4, v8
	v_mul_hi_u32 v13, v4, v11
	v_mul_hi_u32 v14, v4, v8
	v_mul_hi_u32 v10, v7, v11
	v_mul_lo_u32 v11, v7, v11
	v_mul_hi_u32 v9, v7, v8
	v_add_co_u32_e32 v12, vcc, v13, v12
	v_addc_co_u32_e32 v13, vcc, 0, v14, vcc
	v_mul_lo_u32 v8, v7, v8
	v_add_co_u32_e32 v11, vcc, v12, v11
	v_addc_co_u32_e32 v10, vcc, v13, v10, vcc
	v_addc_co_u32_e32 v9, vcc, 0, v9, vcc
	v_add_co_u32_e32 v8, vcc, v10, v8
	v_addc_co_u32_e32 v9, vcc, 0, v9, vcc
	v_add_co_u32_e32 v4, vcc, v4, v8
	v_addc_co_u32_e32 v9, vcc, v7, v9, vcc
	v_mad_u64_u32 v[7:8], s[0:1], v5, v9, 0
	v_mul_hi_u32 v10, v5, v4
	v_add_co_u32_e32 v11, vcc, v10, v7
	v_addc_co_u32_e32 v12, vcc, 0, v8, vcc
	v_mad_u64_u32 v[7:8], s[0:1], v6, v4, 0
	v_mad_u64_u32 v[9:10], s[0:1], v6, v9, 0
	v_add_co_u32_e32 v4, vcc, v11, v7
	v_addc_co_u32_e32 v4, vcc, v12, v8, vcc
	v_addc_co_u32_e32 v7, vcc, 0, v10, vcc
	v_add_co_u32_e32 v4, vcc, v4, v9
	v_addc_co_u32_e32 v9, vcc, 0, v7, vcc
	v_mul_lo_u32 v10, s25, v4
	v_mul_lo_u32 v11, s24, v9
	v_mad_u64_u32 v[7:8], s[0:1], s24, v4, 0
	v_add3_u32 v8, v8, v11, v10
	v_sub_u32_e32 v10, v6, v8
	v_mov_b32_e32 v11, s25
	v_sub_co_u32_e32 v7, vcc, v5, v7
	v_subb_co_u32_e64 v10, s[0:1], v10, v11, vcc
	v_subrev_co_u32_e64 v11, s[0:1], s24, v7
	v_subbrev_co_u32_e64 v10, s[0:1], 0, v10, s[0:1]
	v_cmp_le_u32_e64 s[0:1], s25, v10
	v_cndmask_b32_e64 v12, 0, -1, s[0:1]
	v_cmp_le_u32_e64 s[0:1], s24, v11
	v_cndmask_b32_e64 v11, 0, -1, s[0:1]
	v_cmp_eq_u32_e64 s[0:1], s25, v10
	v_cndmask_b32_e64 v10, v12, v11, s[0:1]
	v_add_co_u32_e64 v11, s[0:1], 2, v4
	v_addc_co_u32_e64 v12, s[0:1], 0, v9, s[0:1]
	v_add_co_u32_e64 v13, s[0:1], 1, v4
	v_addc_co_u32_e64 v14, s[0:1], 0, v9, s[0:1]
	v_subb_co_u32_e32 v8, vcc, v6, v8, vcc
	v_cmp_ne_u32_e64 s[0:1], 0, v10
	v_cmp_le_u32_e32 vcc, s25, v8
	v_cndmask_b32_e64 v10, v14, v12, s[0:1]
	v_cndmask_b32_e64 v12, 0, -1, vcc
	v_cmp_le_u32_e32 vcc, s24, v7
	v_cndmask_b32_e64 v7, 0, -1, vcc
	v_cmp_eq_u32_e32 vcc, s25, v8
	v_cndmask_b32_e32 v7, v12, v7, vcc
	v_cmp_ne_u32_e32 vcc, 0, v7
	v_cndmask_b32_e64 v7, v13, v11, s[0:1]
	v_cndmask_b32_e32 v23, v9, v10, vcc
	v_cndmask_b32_e32 v22, v4, v7, vcc
.LBB0_4:                                ;   in Loop: Header=BB0_2 Depth=1
	s_andn2_saveexec_b64 s[0:1], s[26:27]
	s_cbranch_execz .LBB0_6
; %bb.5:                                ;   in Loop: Header=BB0_2 Depth=1
	v_cvt_f32_u32_e32 v4, s24
	s_sub_i32 s26, 0, s24
	v_mov_b32_e32 v23, v3
	v_rcp_iflag_f32_e32 v4, v4
	v_mul_f32_e32 v4, 0x4f7ffffe, v4
	v_cvt_u32_f32_e32 v4, v4
	v_mul_lo_u32 v7, s26, v4
	v_mul_hi_u32 v7, v4, v7
	v_add_u32_e32 v4, v4, v7
	v_mul_hi_u32 v4, v5, v4
	v_mul_lo_u32 v7, v4, s24
	v_add_u32_e32 v8, 1, v4
	v_sub_u32_e32 v7, v5, v7
	v_subrev_u32_e32 v9, s24, v7
	v_cmp_le_u32_e32 vcc, s24, v7
	v_cndmask_b32_e32 v7, v7, v9, vcc
	v_cndmask_b32_e32 v4, v4, v8, vcc
	v_add_u32_e32 v8, 1, v4
	v_cmp_le_u32_e32 vcc, s24, v7
	v_cndmask_b32_e32 v22, v4, v8, vcc
.LBB0_6:                                ;   in Loop: Header=BB0_2 Depth=1
	s_or_b64 exec, exec, s[0:1]
	v_mul_lo_u32 v4, v23, s24
	v_mul_lo_u32 v9, v22, s25
	v_mad_u64_u32 v[7:8], s[0:1], v22, s24, 0
	s_load_dwordx2 s[0:1], s[6:7], 0x0
	s_load_dwordx2 s[24:25], s[2:3], 0x0
	v_add3_u32 v4, v8, v9, v4
	v_sub_co_u32_e32 v5, vcc, v5, v7
	v_subb_co_u32_e32 v4, vcc, v6, v4, vcc
	s_waitcnt lgkmcnt(0)
	v_mul_lo_u32 v6, s0, v4
	v_mul_lo_u32 v7, s1, v5
	v_mad_u64_u32 v[1:2], s[0:1], s0, v5, v[1:2]
	v_mul_lo_u32 v4, s24, v4
	v_mul_lo_u32 v8, s25, v5
	v_mad_u64_u32 v[20:21], s[0:1], s24, v5, v[20:21]
	s_add_u32 s22, s22, 1
	s_addc_u32 s23, s23, 0
	s_add_u32 s2, s2, 8
	v_add3_u32 v21, v8, v21, v4
	s_addc_u32 s3, s3, 0
	v_mov_b32_e32 v4, s14
	s_add_u32 s6, s6, 8
	v_mov_b32_e32 v5, s15
	s_addc_u32 s7, s7, 0
	v_cmp_ge_u64_e32 vcc, s[22:23], v[4:5]
	s_add_u32 s20, s20, 8
	v_add3_u32 v2, v7, v2, v6
	s_addc_u32 s21, s21, 0
	s_cbranch_vccnz .LBB0_9
; %bb.7:                                ;   in Loop: Header=BB0_2 Depth=1
	v_mov_b32_e32 v5, v22
	v_mov_b32_e32 v6, v23
	s_branch .LBB0_2
.LBB0_8:
	v_mov_b32_e32 v21, v2
	v_mov_b32_e32 v23, v6
	;; [unrolled: 1-line block ×4, first 2 shown]
.LBB0_9:
	s_load_dwordx2 s[0:1], s[4:5], 0x28
	s_lshl_b64 s[6:7], s[14:15], 3
	s_add_u32 s2, s18, s6
	s_addc_u32 s3, s19, s7
                                        ; implicit-def: $vgpr24
	s_waitcnt lgkmcnt(0)
	v_cmp_gt_u64_e32 vcc, s[0:1], v[22:23]
	v_cmp_le_u64_e64 s[0:1], s[0:1], v[22:23]
	s_and_saveexec_b64 s[4:5], s[0:1]
	s_xor_b64 s[0:1], exec, s[4:5]
; %bb.10:
	s_mov_b32 s4, 0x4a7904b
	v_mul_hi_u32 v1, v0, s4
	v_mul_u32_u24_e32 v1, 55, v1
	v_sub_u32_e32 v24, v0, v1
                                        ; implicit-def: $vgpr0
                                        ; implicit-def: $vgpr1_vgpr2
; %bb.11:
	s_andn2_saveexec_b64 s[4:5], s[0:1]
	s_cbranch_execz .LBB0_13
; %bb.12:
	s_add_u32 s0, s16, s6
	s_addc_u32 s1, s17, s7
	s_load_dwordx2 s[0:1], s[0:1], 0x0
	s_mov_b32 s6, 0x4a7904b
	v_mul_hi_u32 v5, v0, s6
	s_waitcnt lgkmcnt(0)
	v_mul_lo_u32 v6, s1, v22
	v_mul_lo_u32 v7, s0, v23
	v_mad_u64_u32 v[3:4], s[0:1], s0, v22, 0
	v_mul_u32_u24_e32 v5, 55, v5
	v_sub_u32_e32 v24, v0, v5
	v_add3_u32 v4, v4, v7, v6
	v_lshlrev_b64 v[3:4], 3, v[3:4]
	v_mov_b32_e32 v0, s9
	v_add_co_u32_e64 v3, s[0:1], s8, v3
	v_addc_co_u32_e64 v4, s[0:1], v0, v4, s[0:1]
	v_lshlrev_b64 v[0:1], 3, v[1:2]
	v_lshlrev_b32_e32 v27, 3, v24
	v_add_co_u32_e64 v0, s[0:1], v3, v0
	v_addc_co_u32_e64 v1, s[0:1], v4, v1, s[0:1]
	v_add_co_u32_e64 v0, s[0:1], v0, v27
	v_addc_co_u32_e64 v1, s[0:1], 0, v1, s[0:1]
	global_load_dwordx2 v[2:3], v[0:1], off
	global_load_dwordx2 v[4:5], v[0:1], off offset:440
	global_load_dwordx2 v[6:7], v[0:1], off offset:880
	;; [unrolled: 1-line block ×9, first 2 shown]
	v_add_u32_e32 v0, 0, v27
	v_add_u32_e32 v1, 0x400, v0
	;; [unrolled: 1-line block ×3, first 2 shown]
	s_waitcnt vmcnt(8)
	ds_write2_b64 v0, v[2:3], v[4:5] offset1:55
	s_waitcnt vmcnt(6)
	ds_write2_b64 v0, v[6:7], v[8:9] offset0:110 offset1:165
	s_waitcnt vmcnt(4)
	ds_write2_b64 v1, v[10:11], v[12:13] offset0:92 offset1:147
	;; [unrolled: 2-line block ×4, first 2 shown]
.LBB0_13:
	s_or_b64 exec, exec, s[4:5]
	v_lshl_add_u32 v27, v24, 3, 0
	v_add_u32_e32 v28, 0x800, v27
	s_waitcnt lgkmcnt(0)
	; wave barrier
	s_waitcnt lgkmcnt(0)
	ds_read2_b64 v[0:3], v27 offset1:50
	ds_read2_b64 v[4:7], v27 offset0:100 offset1:150
	ds_read2_b64 v[12:15], v27 offset0:200 offset1:250
	;; [unrolled: 1-line block ×3, first 2 shown]
	ds_read_b64 v[25:26], v27 offset:4000
	ds_read2_b64 v[8:11], v28 offset0:144 offset1:194
	v_cmp_gt_u32_e64 s[0:1], 50, v24
	s_waitcnt lgkmcnt(0)
	; wave barrier
	s_waitcnt lgkmcnt(0)
	s_and_saveexec_b64 s[4:5], s[0:1]
	s_cbranch_execz .LBB0_15
; %bb.14:
	v_add_f32_e32 v31, v0, v2
	v_add_f32_e32 v30, v1, v3
	;; [unrolled: 1-line block ×9, first 2 shown]
	v_sub_f32_e32 v29, v12, v18
	v_add_f32_e32 v30, v30, v15
	v_add_f32_e32 v32, v19, v13
	;; [unrolled: 1-line block ×4, first 2 shown]
	v_sub_f32_e32 v12, v13, v19
	v_sub_f32_e32 v13, v15, v17
	v_add_f32_e32 v15, v31, v16
	v_sub_f32_e32 v33, v14, v16
	v_add_f32_e32 v36, v16, v14
	v_add_f32_e32 v14, v30, v17
	;; [unrolled: 1-line block ×5, first 2 shown]
	v_sub_f32_e32 v17, v6, v8
	v_sub_f32_e32 v18, v5, v11
	v_add_f32_e32 v38, v8, v6
	v_add_f32_e32 v5, v15, v8
	v_sub_f32_e32 v6, v2, v25
	v_sub_f32_e32 v16, v4, v10
	v_add_f32_e32 v31, v9, v7
	v_add_f32_e32 v37, v10, v4
	v_sub_f32_e32 v19, v7, v9
	v_add_f32_e32 v4, v14, v9
	v_add_f32_e32 v5, v5, v10
	v_mul_f32_e32 v7, 0xbe903f40, v6
	v_mul_f32_e32 v10, 0xbf4178ce, v6
	;; [unrolled: 1-line block ×5, first 2 shown]
	v_add_f32_e32 v4, v4, v11
	s_mov_b32 s0, 0xbf75a155
	v_add_f32_e32 v8, v26, v3
	v_mov_b32_e32 v9, v7
	s_mov_b32 s8, 0x3f575c64
	s_mov_b32 s1, 0xbf27a4f4
	;; [unrolled: 1-line block ×4, first 2 shown]
	v_mov_b32_e32 v11, v10
	v_mov_b32_e32 v15, v14
	;; [unrolled: 1-line block ×4, first 2 shown]
	v_sub_f32_e32 v3, v3, v26
	v_fmac_f32_e32 v9, 0xbf75a155, v8
	v_fmac_f32_e32 v11, 0xbf27a4f4, v8
	;; [unrolled: 1-line block ×5, first 2 shown]
	v_fma_f32 v7, v8, s0, -v7
	v_fma_f32 v10, v8, s1, -v10
	;; [unrolled: 1-line block ×5, first 2 shown]
	v_mul_f32_e32 v8, 0xbe903f40, v3
	v_mul_f32_e32 v42, 0xbf4178ce, v3
	;; [unrolled: 1-line block ×5, first 2 shown]
	v_add_f32_e32 v2, v25, v2
	v_fma_f32 v49, v2, s8, -v3
	v_fmac_f32_e32 v3, 0x3f575c64, v2
	v_add_f32_e32 v52, v1, v14
	v_mul_f32_e32 v14, 0x3f0a6770, v16
	v_fma_f32 v45, v2, s0, -v8
	v_fmac_f32_e32 v8, 0xbf75a155, v2
	v_fma_f32 v46, v2, s1, -v42
	v_fmac_f32_e32 v42, 0xbf27a4f4, v2
	;; [unrolled: 2-line block ×4, first 2 shown]
	v_add_f32_e32 v54, v0, v3
	v_mov_b32_e32 v3, v14
	v_add_f32_e32 v2, v1, v9
	v_add_f32_e32 v9, v0, v45
	;; [unrolled: 1-line block ×11, first 2 shown]
	v_fmac_f32_e32 v3, 0x3f575c64, v30
	v_mul_f32_e32 v25, 0xbf4178ce, v17
	v_add_f32_e32 v2, v3, v2
	v_mov_b32_e32 v3, v25
	v_add_f32_e32 v11, v1, v11
	v_add_f32_e32 v15, v1, v15
	v_add_f32_e32 v40, v1, v40
	v_add_f32_e32 v41, v1, v41
	v_add_f32_e32 v49, v1, v7
	v_add_f32_e32 v51, v1, v10
	v_add_f32_e32 v39, v1, v39
	v_add_f32_e32 v53, v1, v6
	v_add_f32_e32 v1, v4, v26
	v_fmac_f32_e32 v3, 0xbf27a4f4, v31
	v_mul_f32_e32 v26, 0x3f68dda4, v29
	v_add_f32_e32 v2, v3, v2
	v_mov_b32_e32 v3, v26
	v_fmac_f32_e32 v3, 0x3ed4b147, v32
	v_mul_f32_e32 v55, 0x3f0a6770, v18
	v_add_f32_e32 v2, v3, v2
	v_fma_f32 v3, v37, s8, -v55
	v_mul_f32_e32 v56, 0xbf4178ce, v19
	v_add_f32_e32 v3, v3, v9
	v_fma_f32 v4, v38, s1, -v56
	;; [unrolled: 3-line block ×3, first 2 shown]
	v_mul_f32_e32 v58, 0xbf7d64f0, v33
	v_add_f32_e32 v4, v4, v3
	v_mov_b32_e32 v3, v58
	v_fmac_f32_e32 v3, 0xbe11bafb, v34
	v_mul_f32_e32 v59, 0xbf7d64f0, v13
	v_add_f32_e32 v3, v3, v2
	v_fma_f32 v2, v36, s6, -v59
	v_mul_f32_e32 v60, 0x3f7d64f0, v16
	v_add_f32_e32 v2, v2, v4
	v_mov_b32_e32 v4, v60
	v_mul_f32_e32 v61, 0xbf0a6770, v17
	v_fmac_f32_e32 v4, 0xbe11bafb, v30
	v_mov_b32_e32 v5, v61
	v_add_f32_e32 v4, v4, v11
	v_fmac_f32_e32 v5, 0x3f575c64, v31
	v_mul_f32_e32 v62, 0xbe903f40, v29
	v_add_f32_e32 v4, v5, v4
	v_mov_b32_e32 v5, v62
	v_fmac_f32_e32 v5, 0xbf75a155, v32
	v_mul_f32_e32 v63, 0x3f7d64f0, v18
	v_add_f32_e32 v4, v5, v4
	v_fma_f32 v5, v37, s6, -v63
	v_add_f32_e32 v5, v5, v45
	v_mul_f32_e32 v45, 0xbf0a6770, v19
	v_fma_f32 v6, v38, s8, -v45
	v_mul_f32_e32 v64, 0xbe903f40, v12
	v_add_f32_e32 v5, v6, v5
	v_fma_f32 v6, v35, s0, -v64
	v_mul_f32_e32 v65, 0x3f68dda4, v33
	v_add_f32_e32 v6, v6, v5
	v_mov_b32_e32 v5, v65
	v_fmac_f32_e32 v5, 0x3ed4b147, v34
	v_mul_f32_e32 v66, 0x3f68dda4, v13
	v_add_f32_e32 v5, v5, v4
	v_fma_f32 v4, v36, s7, -v66
	v_mul_f32_e32 v67, 0x3e903f40, v16
	v_add_f32_e32 v4, v4, v6
	v_mov_b32_e32 v6, v67
	v_mul_f32_e32 v68, 0x3f68dda4, v17
	v_fmac_f32_e32 v6, 0xbf75a155, v30
	v_mov_b32_e32 v7, v68
	v_add_f32_e32 v6, v6, v15
	v_fmac_f32_e32 v7, 0x3ed4b147, v31
	v_mul_f32_e32 v69, 0xbf0a6770, v29
	v_add_f32_e32 v6, v7, v6
	v_mov_b32_e32 v7, v69
	v_fmac_f32_e32 v7, 0x3f575c64, v32
	v_mul_f32_e32 v70, 0x3e903f40, v18
	v_add_f32_e32 v6, v7, v6
	v_fma_f32 v7, v37, s0, -v70
	v_add_f32_e32 v7, v7, v46
	v_mul_f32_e32 v46, 0x3f68dda4, v19
	v_fma_f32 v8, v38, s7, -v46
	v_mul_f32_e32 v71, 0xbf0a6770, v12
	v_add_f32_e32 v7, v8, v7
	v_fma_f32 v8, v35, s8, -v71
	v_mul_f32_e32 v72, 0xbf4178ce, v33
	v_add_f32_e32 v8, v8, v7
	v_mov_b32_e32 v7, v72
	v_fmac_f32_e32 v7, 0xbf27a4f4, v34
	v_mul_f32_e32 v73, 0xbf4178ce, v13
	v_add_f32_e32 v7, v7, v6
	v_fma_f32 v6, v36, s1, -v73
	v_mul_f32_e32 v74, 0xbf4178ce, v16
	v_add_f32_e32 v6, v6, v8
	v_mov_b32_e32 v8, v74
	v_fmac_f32_e32 v8, 0xbf27a4f4, v30
	v_add_f32_e32 v8, v8, v40
	v_mul_f32_e32 v40, 0x3e903f40, v17
	v_mov_b32_e32 v9, v40
	v_fmac_f32_e32 v9, 0xbf75a155, v31
	v_mul_f32_e32 v75, 0x3f7d64f0, v29
	v_add_f32_e32 v8, v9, v8
	v_mov_b32_e32 v9, v75
	v_fmac_f32_e32 v9, 0xbe11bafb, v32
	v_mul_f32_e32 v76, 0xbf4178ce, v18
	v_add_f32_e32 v8, v9, v8
	v_fma_f32 v9, v37, s1, -v76
	v_add_f32_e32 v9, v9, v47
	v_mul_f32_e32 v47, 0x3e903f40, v19
	v_fma_f32 v10, v38, s0, -v47
	v_mul_f32_e32 v77, 0x3f7d64f0, v12
	v_add_f32_e32 v9, v10, v9
	v_fma_f32 v10, v35, s6, -v77
	v_mul_f32_e32 v78, 0x3f0a6770, v33
	v_add_f32_e32 v10, v10, v9
	v_mov_b32_e32 v9, v78
	v_fmac_f32_e32 v9, 0x3f575c64, v34
	v_mul_f32_e32 v79, 0x3f0a6770, v13
	v_add_f32_e32 v9, v9, v8
	v_fma_f32 v8, v36, s8, -v79
	v_mul_f32_e32 v80, 0xbf68dda4, v16
	v_add_f32_e32 v8, v8, v10
	v_mov_b32_e32 v10, v80
	v_fmac_f32_e32 v10, 0x3ed4b147, v30
	v_add_f32_e32 v10, v10, v41
	v_mul_f32_e32 v41, 0xbf7d64f0, v17
	v_mov_b32_e32 v11, v41
	v_fmac_f32_e32 v11, 0xbe11bafb, v31
	v_mul_f32_e32 v29, 0xbf4178ce, v29
	v_add_f32_e32 v10, v11, v10
	v_mov_b32_e32 v11, v29
	v_fmac_f32_e32 v11, 0xbf27a4f4, v32
	v_mul_f32_e32 v81, 0xbf68dda4, v18
	v_add_f32_e32 v10, v11, v10
	v_fma_f32 v11, v37, s7, -v81
	v_add_f32_e32 v11, v11, v48
	v_mul_f32_e32 v48, 0xbf7d64f0, v19
	v_fma_f32 v15, v38, s6, -v48
	v_mul_f32_e32 v82, 0xbf4178ce, v12
	v_add_f32_e32 v11, v15, v11
	v_fma_f32 v12, v35, s1, -v82
	v_mul_f32_e32 v33, 0xbe903f40, v33
	v_add_f32_e32 v12, v12, v11
	v_mov_b32_e32 v11, v33
	v_fmac_f32_e32 v11, 0xbf75a155, v34
	v_mul_f32_e32 v83, 0xbe903f40, v13
	v_add_f32_e32 v11, v11, v10
	v_fma_f32 v10, v36, s0, -v83
	v_add_f32_e32 v10, v10, v12
	v_fma_f32 v12, v30, s8, -v14
	;; [unrolled: 2-line block ×4, first 2 shown]
	v_fmac_f32_e32 v55, 0x3f575c64, v37
	v_add_f32_e32 v12, v13, v12
	v_add_f32_e32 v13, v55, v50
	v_fmac_f32_e32 v56, 0xbf27a4f4, v38
	v_add_f32_e32 v13, v56, v13
	v_fmac_f32_e32 v57, 0x3ed4b147, v35
	v_add_f32_e32 v14, v57, v13
	v_fma_f32 v13, v34, s6, -v58
	v_fmac_f32_e32 v59, 0xbe11bafb, v36
	v_add_f32_e32 v13, v13, v12
	v_add_f32_e32 v12, v59, v14
	v_fma_f32 v14, v30, s6, -v60
	v_add_f32_e32 v14, v14, v51
	v_fma_f32 v15, v31, s8, -v61
	v_add_f32_e32 v14, v15, v14
	v_fma_f32 v15, v32, s0, -v62
	v_fmac_f32_e32 v63, 0xbe11bafb, v37
	v_add_f32_e32 v14, v15, v14
	v_add_f32_e32 v15, v63, v42
	v_fmac_f32_e32 v45, 0x3f575c64, v38
	v_add_f32_e32 v15, v45, v15
	v_fmac_f32_e32 v64, 0xbf75a155, v35
	v_add_f32_e32 v16, v64, v15
	v_fma_f32 v15, v34, s7, -v65
	v_fmac_f32_e32 v66, 0x3ed4b147, v36
	v_add_f32_e32 v15, v15, v14
	v_add_f32_e32 v14, v66, v16
	v_fma_f32 v16, v30, s0, -v67
	v_add_f32_e32 v16, v16, v52
	v_fma_f32 v17, v31, s7, -v68
	v_add_f32_e32 v16, v17, v16
	v_fma_f32 v17, v32, s8, -v69
	;; [unrolled: 16-line block ×3, first 2 shown]
	v_fmac_f32_e32 v76, 0xbf27a4f4, v37
	v_add_f32_e32 v18, v19, v18
	v_add_f32_e32 v19, v76, v44
	v_fmac_f32_e32 v47, 0xbf75a155, v38
	v_add_f32_e32 v19, v47, v19
	v_fmac_f32_e32 v77, 0xbe11bafb, v35
	v_add_f32_e32 v25, v77, v19
	v_fma_f32 v19, v34, s8, -v78
	v_fmac_f32_e32 v79, 0x3f575c64, v36
	v_add_f32_e32 v19, v19, v18
	v_add_f32_e32 v18, v79, v25
	v_fma_f32 v25, v30, s7, -v80
	v_add_f32_e32 v25, v25, v53
	v_fma_f32 v26, v31, s6, -v41
	v_fmac_f32_e32 v81, 0x3ed4b147, v37
	v_add_f32_e32 v25, v26, v25
	v_fma_f32 v26, v32, s1, -v29
	v_add_f32_e32 v29, v81, v54
	v_fmac_f32_e32 v48, 0xbe11bafb, v38
	v_add_f32_e32 v29, v48, v29
	v_fmac_f32_e32 v82, 0xbf27a4f4, v35
	v_add_f32_e32 v25, v26, v25
	v_fma_f32 v26, v34, s0, -v33
	v_add_f32_e32 v29, v82, v29
	v_fmac_f32_e32 v83, 0xbf75a155, v36
	s_movk_i32 s0, 0x50
	v_add_f32_e32 v26, v26, v25
	v_add_f32_e32 v25, v83, v29
	v_mad_u32_u24 v29, v24, s0, v27
	ds_write2_b64 v29, v[0:1], v[10:11] offset1:1
	ds_write2_b64 v29, v[8:9], v[6:7] offset0:2 offset1:3
	ds_write2_b64 v29, v[4:5], v[2:3] offset0:4 offset1:5
	;; [unrolled: 1-line block ×4, first 2 shown]
	ds_write_b64 v29, v[25:26] offset:80
.LBB0_15:
	s_or_b64 exec, exec, s[4:5]
	s_movk_i32 s0, 0x75
	v_mul_lo_u16_sdwa v0, v24, s0 dst_sel:DWORD dst_unused:UNUSED_PAD src0_sel:BYTE_0 src1_sel:DWORD
	v_sub_u16_sdwa v1, v24, v0 dst_sel:DWORD dst_unused:UNUSED_PAD src0_sel:DWORD src1_sel:BYTE_1
	v_lshrrev_b16_e32 v1, 1, v1
	v_and_b32_e32 v1, 0x7f, v1
	v_add_u16_sdwa v0, v1, v0 dst_sel:DWORD dst_unused:UNUSED_PAD src0_sel:DWORD src1_sel:BYTE_1
	v_lshrrev_b16_e32 v19, 3, v0
	v_mul_lo_u16_e32 v0, 11, v19
	v_sub_u16_e32 v49, v24, v0
	v_mov_b32_e32 v0, 9
	v_mul_u32_u24_sdwa v0, v49, v0 dst_sel:DWORD dst_unused:UNUSED_PAD src0_sel:BYTE_0 src1_sel:DWORD
	v_lshlrev_b32_e32 v2, 3, v0
	s_load_dwordx2 s[2:3], s[2:3], 0x0
	s_waitcnt lgkmcnt(0)
	; wave barrier
	s_waitcnt lgkmcnt(0)
	global_load_dwordx4 v[3:6], v2, s[12:13]
	global_load_dwordx4 v[7:10], v2, s[12:13] offset:16
	global_load_dwordx4 v[11:14], v2, s[12:13] offset:32
	;; [unrolled: 1-line block ×3, first 2 shown]
	global_load_dwordx2 v[0:1], v2, s[12:13] offset:64
	v_add_u32_e32 v2, 0x400, v27
	ds_read2_b64 v[29:32], v27 offset1:55
	ds_read2_b64 v[33:36], v27 offset0:110 offset1:165
	ds_read2_b64 v[37:40], v28 offset0:74 offset1:129
	;; [unrolled: 1-line block ×4, first 2 shown]
	s_mov_b32 s4, 0x3f737871
	s_mov_b32 s5, 0x3f167918
	;; [unrolled: 1-line block ×4, first 2 shown]
	v_mul_u32_u24_e32 v19, 0x370, v19
	s_waitcnt lgkmcnt(0)
	; wave barrier
	s_waitcnt lgkmcnt(0)
	s_add_u32 s6, s12, 0x10d8
	s_addc_u32 s7, s13, 0
	s_waitcnt vmcnt(4)
	v_mul_f32_e32 v25, v4, v32
	v_mul_f32_e32 v26, v4, v31
	;; [unrolled: 1-line block ×4, first 2 shown]
	s_waitcnt vmcnt(3)
	v_mul_f32_e32 v51, v10, v46
	v_mul_f32_e32 v10, v10, v45
	s_waitcnt vmcnt(2)
	v_mul_f32_e32 v53, v38, v14
	v_mul_f32_e32 v14, v37, v14
	;; [unrolled: 3-line block ×3, first 2 shown]
	v_mul_f32_e32 v8, v8, v35
	v_mul_f32_e32 v52, v12, v48
	v_mul_f32_e32 v12, v12, v47
	v_mul_f32_e32 v54, v40, v16
	v_mul_f32_e32 v16, v39, v16
	v_mul_f32_e32 v18, v41, v18
	s_waitcnt vmcnt(0)
	v_mul_f32_e32 v56, v44, v1
	v_mul_f32_e32 v1, v43, v1
	v_fma_f32 v25, v3, v31, -v25
	v_fmac_f32_e32 v26, v3, v32
	v_fma_f32 v3, v5, v33, -v4
	v_fmac_f32_e32 v6, v5, v34
	;; [unrolled: 2-line block ×4, first 2 shown]
	v_fma_f32 v13, v41, v17, -v55
	v_fma_f32 v4, v7, v35, -v50
	v_fmac_f32_e32 v8, v7, v36
	v_fma_f32 v7, v11, v47, -v52
	v_fmac_f32_e32 v12, v11, v48
	;; [unrolled: 2-line block ×3, first 2 shown]
	v_fmac_f32_e32 v18, v42, v17
	v_fma_f32 v15, v43, v0, -v56
	v_fmac_f32_e32 v1, v44, v0
	v_add_f32_e32 v0, v29, v3
	v_add_f32_e32 v17, v5, v9
	;; [unrolled: 1-line block ×3, first 2 shown]
	v_sub_f32_e32 v33, v3, v5
	v_sub_f32_e32 v34, v13, v9
	;; [unrolled: 1-line block ×4, first 2 shown]
	v_add_f32_e32 v0, v0, v5
	v_fma_f32 v39, -0.5, v17, v29
	v_fma_f32 v29, -0.5, v35, v29
	v_sub_f32_e32 v31, v6, v18
	v_sub_f32_e32 v32, v10, v14
	v_add_f32_e32 v17, v33, v34
	v_add_f32_e32 v33, v36, v37
	;; [unrolled: 1-line block ×3, first 2 shown]
	v_mov_b32_e32 v35, v39
	v_mov_b32_e32 v36, v29
	v_fmac_f32_e32 v39, 0xbf737871, v31
	v_fmac_f32_e32 v29, 0x3f737871, v32
	v_add_f32_e32 v37, v0, v13
	v_fmac_f32_e32 v35, 0x3f737871, v31
	v_fmac_f32_e32 v36, 0xbf737871, v32
	v_add_f32_e32 v0, v10, v14
	v_fmac_f32_e32 v39, 0xbf167918, v32
	v_fmac_f32_e32 v29, 0xbf167918, v31
	;; [unrolled: 1-line block ×4, first 2 shown]
	v_fma_f32 v32, -0.5, v0, v30
	v_fmac_f32_e32 v29, 0x3e9e377a, v33
	v_fmac_f32_e32 v36, 0x3e9e377a, v33
	v_sub_f32_e32 v0, v3, v13
	v_mov_b32_e32 v33, v32
	v_fmac_f32_e32 v33, 0xbf737871, v0
	v_sub_f32_e32 v3, v5, v9
	v_sub_f32_e32 v5, v6, v10
	;; [unrolled: 1-line block ×3, first 2 shown]
	v_fmac_f32_e32 v32, 0x3f737871, v0
	v_add_f32_e32 v38, v30, v6
	v_fmac_f32_e32 v33, 0xbf167918, v3
	v_add_f32_e32 v5, v5, v9
	;; [unrolled: 2-line block ×3, first 2 shown]
	v_fmac_f32_e32 v33, 0x3e9e377a, v5
	v_fmac_f32_e32 v32, 0x3e9e377a, v5
	v_add_f32_e32 v5, v6, v18
	v_add_f32_e32 v34, v34, v14
	v_fma_f32 v30, -0.5, v5, v30
	v_add_f32_e32 v31, v34, v18
	v_mov_b32_e32 v34, v30
	v_fmac_f32_e32 v34, 0x3f737871, v3
	v_fmac_f32_e32 v30, 0xbf737871, v3
	;; [unrolled: 1-line block ×4, first 2 shown]
	v_add_f32_e32 v0, v25, v4
	v_add_f32_e32 v0, v0, v7
	;; [unrolled: 1-line block ×5, first 2 shown]
	v_sub_f32_e32 v5, v10, v6
	v_sub_f32_e32 v6, v14, v18
	v_fma_f32 v10, -0.5, v0, v25
	v_add_f32_e32 v5, v5, v6
	v_sub_f32_e32 v0, v8, v1
	v_mov_b32_e32 v6, v10
	v_fmac_f32_e32 v34, 0x3e9e377a, v5
	v_fmac_f32_e32 v30, 0x3e9e377a, v5
	;; [unrolled: 1-line block ×3, first 2 shown]
	v_sub_f32_e32 v3, v12, v16
	v_sub_f32_e32 v5, v4, v7
	;; [unrolled: 1-line block ×3, first 2 shown]
	v_fmac_f32_e32 v10, 0xbf737871, v0
	v_fmac_f32_e32 v6, 0x3f167918, v3
	v_add_f32_e32 v5, v5, v9
	v_fmac_f32_e32 v10, 0xbf167918, v3
	v_fmac_f32_e32 v6, 0x3e9e377a, v5
	;; [unrolled: 1-line block ×3, first 2 shown]
	v_add_f32_e32 v5, v4, v15
	v_fmac_f32_e32 v25, -0.5, v5
	v_mov_b32_e32 v14, v25
	v_fmac_f32_e32 v14, 0xbf737871, v3
	v_fmac_f32_e32 v25, 0x3f737871, v3
	;; [unrolled: 1-line block ×4, first 2 shown]
	v_add_f32_e32 v0, v26, v8
	v_add_f32_e32 v0, v0, v12
	v_add_f32_e32 v0, v0, v16
	v_add_f32_e32 v18, v0, v1
	v_add_f32_e32 v0, v12, v16
	v_fmac_f32_e32 v39, 0x3e9e377a, v17
	v_fmac_f32_e32 v35, 0x3e9e377a, v17
	v_sub_f32_e32 v5, v7, v4
	v_sub_f32_e32 v9, v11, v15
	v_fma_f32 v17, -0.5, v0, v26
	v_add_f32_e32 v5, v5, v9
	v_sub_f32_e32 v0, v4, v15
	v_mov_b32_e32 v4, v17
	v_fmac_f32_e32 v14, 0x3e9e377a, v5
	v_fmac_f32_e32 v25, 0x3e9e377a, v5
	;; [unrolled: 1-line block ×3, first 2 shown]
	v_sub_f32_e32 v3, v7, v11
	v_sub_f32_e32 v5, v8, v12
	;; [unrolled: 1-line block ×3, first 2 shown]
	v_fmac_f32_e32 v17, 0x3f737871, v0
	v_fmac_f32_e32 v4, 0xbf167918, v3
	v_add_f32_e32 v5, v5, v7
	v_fmac_f32_e32 v17, 0x3f167918, v3
	v_fmac_f32_e32 v4, 0x3e9e377a, v5
	;; [unrolled: 1-line block ×3, first 2 shown]
	v_add_f32_e32 v5, v8, v1
	v_fmac_f32_e32 v26, -0.5, v5
	v_mov_b32_e32 v11, v26
	v_fmac_f32_e32 v11, 0x3f737871, v3
	v_sub_f32_e32 v5, v12, v8
	v_sub_f32_e32 v1, v16, v1
	v_fmac_f32_e32 v26, 0xbf737871, v3
	v_fmac_f32_e32 v11, 0xbf167918, v0
	v_add_f32_e32 v1, v5, v1
	v_fmac_f32_e32 v26, 0x3f167918, v0
	v_fmac_f32_e32 v11, 0x3e9e377a, v1
	;; [unrolled: 1-line block ×3, first 2 shown]
	v_mul_f32_e32 v1, 0x3e9e377a, v25
	v_fma_f32 v16, v26, s4, -v1
	v_mul_f32_e32 v1, 0x3f4f1bbd, v10
	v_mul_f32_e32 v41, 0xbf737871, v14
	v_mul_f32_e32 v12, 0x3f167918, v4
	v_mul_f32_e32 v15, 0x3f737871, v11
	v_add_f32_e32 v7, v29, v16
	v_fma_f32 v38, v17, s5, -v1
	v_mul_f32_e32 v40, 0xbf167918, v6
	v_fmac_f32_e32 v41, 0x3e9e377a, v11
	v_mul_f32_e32 v11, 0x3f4f1bbd, v17
	v_sub_f32_e32 v17, v29, v16
	v_mov_b32_e32 v29, 3
	v_fmac_f32_e32 v12, 0x3f4f1bbd, v6
	v_fmac_f32_e32 v40, 0x3f4f1bbd, v4
	v_mul_f32_e32 v8, 0x3e9e377a, v26
	v_lshlrev_b32_sdwa v29, v29, v49 dst_sel:DWORD dst_unused:UNUSED_PAD src0_sel:DWORD src1_sel:BYTE_0
	v_add_f32_e32 v0, v37, v13
	v_add_f32_e32 v3, v35, v12
	v_fmac_f32_e32 v15, 0x3e9e377a, v14
	v_add_f32_e32 v1, v31, v18
	v_add_f32_e32 v4, v33, v40
	v_fma_f32 v26, v25, s0, -v8
	v_fma_f32 v42, v10, s1, -v11
	v_add3_u32 v19, 0, v19, v29
	v_add_f32_e32 v5, v36, v15
	v_add_f32_e32 v9, v39, v38
	;; [unrolled: 1-line block ×5, first 2 shown]
	v_sub_f32_e32 v11, v37, v13
	v_sub_f32_e32 v13, v35, v12
	;; [unrolled: 1-line block ×9, first 2 shown]
	ds_write2_b64 v19, v[0:1], v[3:4] offset1:11
	ds_write2_b64 v19, v[5:6], v[7:8] offset0:22 offset1:33
	ds_write2_b64 v19, v[9:10], v[11:12] offset0:44 offset1:55
	;; [unrolled: 1-line block ×4, first 2 shown]
	v_lshlrev_b32_e32 v0, 2, v24
	v_mov_b32_e32 v1, 0
	v_lshlrev_b64 v[3:4], 3, v[0:1]
	v_mov_b32_e32 v13, s13
	v_add_co_u32_e64 v11, s[0:1], s12, v3
	v_addc_co_u32_e64 v12, s[0:1], v13, v4, s[0:1]
	s_waitcnt lgkmcnt(0)
	; wave barrier
	s_waitcnt lgkmcnt(0)
	global_load_dwordx4 v[3:6], v[11:12], off offset:792
	global_load_dwordx4 v[7:10], v[11:12], off offset:808
	v_add_u32_e32 v0, 0xdc, v0
	v_lshlrev_b64 v[11:12], 3, v[0:1]
	v_add_co_u32_e64 v25, s[0:1], s12, v11
	v_addc_co_u32_e64 v26, s[0:1], v13, v12, s[0:1]
	global_load_dwordx4 v[11:14], v[25:26], off offset:792
	global_load_dwordx4 v[15:18], v[25:26], off offset:808
	ds_read2_b64 v[29:32], v27 offset0:110 offset1:165
	ds_read2_b64 v[33:36], v27 offset1:55
	ds_read2_b64 v[37:40], v2 offset0:92 offset1:147
	ds_read2_b64 v[41:44], v28 offset0:74 offset1:129
	;; [unrolled: 1-line block ×3, first 2 shown]
	s_waitcnt lgkmcnt(0)
	; wave barrier
	s_waitcnt lgkmcnt(0)
	v_cmp_ne_u32_e64 s[0:1], 0, v24
	s_waitcnt vmcnt(3)
	v_mul_f32_e32 v0, v4, v30
	v_mul_f32_e32 v19, v4, v29
	v_fma_f32 v0, v3, v29, -v0
	v_fmac_f32_e32 v19, v3, v30
	v_mul_f32_e32 v3, v6, v38
	v_fma_f32 v25, v5, v37, -v3
	s_waitcnt vmcnt(2)
	v_mul_f32_e32 v3, v8, v42
	v_fma_f32 v29, v7, v41, -v3
	v_mul_f32_e32 v26, v6, v37
	v_mul_f32_e32 v37, v10, v45
	v_add_f32_e32 v4, v25, v29
	v_fmac_f32_e32 v26, v5, v38
	v_mul_f32_e32 v30, v8, v41
	v_mul_f32_e32 v3, v10, v46
	v_fmac_f32_e32 v37, v9, v46
	v_fma_f32 v5, -0.5, v4, v33
	v_fmac_f32_e32 v30, v7, v42
	v_fma_f32 v8, v9, v45, -v3
	v_sub_f32_e32 v4, v19, v37
	v_mov_b32_e32 v7, v5
	s_waitcnt vmcnt(1)
	v_mul_f32_e32 v3, v12, v32
	v_fmac_f32_e32 v7, 0x3f737871, v4
	v_sub_f32_e32 v6, v26, v30
	v_sub_f32_e32 v9, v0, v25
	;; [unrolled: 1-line block ×3, first 2 shown]
	v_fmac_f32_e32 v5, 0xbf737871, v4
	v_fma_f32 v38, v11, v31, -v3
	v_mul_f32_e32 v31, v12, v31
	v_mul_f32_e32 v3, v40, v14
	v_fmac_f32_e32 v7, 0x3f167918, v6
	v_add_f32_e32 v9, v9, v10
	v_fmac_f32_e32 v5, 0xbf167918, v6
	v_fmac_f32_e32 v31, v11, v32
	v_fma_f32 v32, v39, v13, -v3
	v_mul_f32_e32 v39, v39, v14
	s_waitcnt vmcnt(0)
	v_mul_f32_e32 v3, v44, v16
	v_fmac_f32_e32 v7, 0x3e9e377a, v9
	v_fmac_f32_e32 v5, 0x3e9e377a, v9
	v_add_f32_e32 v9, v0, v8
	v_fmac_f32_e32 v39, v40, v13
	v_fma_f32 v40, v43, v15, -v3
	v_mul_f32_e32 v3, v48, v18
	v_fma_f32 v9, -0.5, v9, v33
	v_fma_f32 v42, v47, v17, -v3
	v_add_f32_e32 v3, v33, v0
	v_mov_b32_e32 v11, v9
	v_add_f32_e32 v3, v3, v25
	v_fmac_f32_e32 v11, 0xbf737871, v6
	v_fmac_f32_e32 v9, 0x3f737871, v6
	v_add_f32_e32 v6, v26, v30
	v_add_f32_e32 v3, v3, v29
	v_sub_f32_e32 v10, v25, v0
	v_sub_f32_e32 v12, v29, v8
	v_fma_f32 v6, -0.5, v6, v34
	v_add_f32_e32 v3, v3, v8
	v_fmac_f32_e32 v11, 0x3f167918, v4
	v_add_f32_e32 v10, v10, v12
	v_fmac_f32_e32 v9, 0xbf167918, v4
	v_sub_f32_e32 v0, v0, v8
	v_mov_b32_e32 v8, v6
	v_fmac_f32_e32 v11, 0x3e9e377a, v10
	v_fmac_f32_e32 v9, 0x3e9e377a, v10
	;; [unrolled: 1-line block ×3, first 2 shown]
	v_sub_f32_e32 v13, v25, v29
	v_sub_f32_e32 v10, v19, v26
	;; [unrolled: 1-line block ×3, first 2 shown]
	v_fmac_f32_e32 v6, 0x3f737871, v0
	v_fmac_f32_e32 v8, 0xbf167918, v13
	v_add_f32_e32 v10, v10, v12
	v_fmac_f32_e32 v6, 0x3f167918, v13
	v_fmac_f32_e32 v8, 0x3e9e377a, v10
	;; [unrolled: 1-line block ×3, first 2 shown]
	v_add_f32_e32 v10, v19, v37
	v_fma_f32 v10, -0.5, v10, v34
	v_mov_b32_e32 v12, v10
	v_fmac_f32_e32 v12, 0x3f737871, v13
	v_fmac_f32_e32 v10, 0xbf737871, v13
	;; [unrolled: 1-line block ×4, first 2 shown]
	v_add_f32_e32 v0, v35, v38
	v_add_f32_e32 v0, v0, v32
	v_mul_f32_e32 v41, v43, v16
	v_add_f32_e32 v0, v0, v40
	v_fmac_f32_e32 v41, v44, v15
	v_mul_f32_e32 v43, v47, v18
	v_sub_f32_e32 v14, v26, v19
	v_sub_f32_e32 v15, v30, v37
	v_add_f32_e32 v13, v0, v42
	v_add_f32_e32 v0, v32, v40
	v_fmac_f32_e32 v43, v48, v17
	v_add_f32_e32 v14, v14, v15
	v_fma_f32 v15, -0.5, v0, v35
	v_sub_f32_e32 v0, v31, v43
	v_mov_b32_e32 v17, v15
	v_fmac_f32_e32 v12, 0x3e9e377a, v14
	v_fmac_f32_e32 v10, 0x3e9e377a, v14
	;; [unrolled: 1-line block ×3, first 2 shown]
	v_sub_f32_e32 v14, v39, v41
	v_sub_f32_e32 v16, v38, v32
	v_sub_f32_e32 v18, v42, v40
	v_fmac_f32_e32 v15, 0xbf737871, v0
	v_fmac_f32_e32 v17, 0x3f167918, v14
	v_add_f32_e32 v16, v16, v18
	v_fmac_f32_e32 v15, 0xbf167918, v14
	v_fmac_f32_e32 v17, 0x3e9e377a, v16
	;; [unrolled: 1-line block ×3, first 2 shown]
	v_add_f32_e32 v16, v38, v42
	v_fma_f32 v35, -0.5, v16, v35
	v_mov_b32_e32 v25, v35
	v_fmac_f32_e32 v25, 0xbf737871, v14
	v_fmac_f32_e32 v35, 0x3f737871, v14
	;; [unrolled: 1-line block ×4, first 2 shown]
	v_add_f32_e32 v0, v36, v31
	v_add_f32_e32 v0, v0, v39
	v_sub_f32_e32 v16, v32, v38
	v_sub_f32_e32 v18, v40, v42
	v_add_f32_e32 v0, v0, v41
	v_add_f32_e32 v16, v16, v18
	;; [unrolled: 1-line block ×4, first 2 shown]
	v_fmac_f32_e32 v25, 0x3e9e377a, v16
	v_fmac_f32_e32 v35, 0x3e9e377a, v16
	v_fma_f32 v16, -0.5, v0, v36
	v_add_f32_e32 v4, v34, v19
	v_sub_f32_e32 v0, v38, v42
	v_mov_b32_e32 v18, v16
	v_add_f32_e32 v4, v4, v26
	v_fmac_f32_e32 v18, 0xbf737871, v0
	v_sub_f32_e32 v19, v32, v40
	v_sub_f32_e32 v26, v31, v39
	;; [unrolled: 1-line block ×3, first 2 shown]
	v_fmac_f32_e32 v16, 0x3f737871, v0
	v_fmac_f32_e32 v18, 0xbf167918, v19
	v_add_f32_e32 v26, v26, v29
	v_fmac_f32_e32 v16, 0x3f167918, v19
	v_fmac_f32_e32 v18, 0x3e9e377a, v26
	;; [unrolled: 1-line block ×3, first 2 shown]
	v_add_f32_e32 v26, v31, v43
	v_fmac_f32_e32 v36, -0.5, v26
	v_mov_b32_e32 v26, v36
	v_add_f32_e32 v4, v4, v30
	v_fmac_f32_e32 v26, 0x3f737871, v19
	v_sub_f32_e32 v29, v39, v31
	v_sub_f32_e32 v30, v41, v43
	v_fmac_f32_e32 v36, 0xbf737871, v19
	v_add_f32_e32 v4, v4, v37
	v_fmac_f32_e32 v26, 0xbf167918, v0
	v_add_f32_e32 v29, v29, v30
	v_fmac_f32_e32 v36, 0x3f167918, v0
	v_fmac_f32_e32 v26, 0x3e9e377a, v29
	;; [unrolled: 1-line block ×3, first 2 shown]
	ds_write2_b64 v27, v[3:4], v[13:14] offset1:55
	ds_write2_b64 v27, v[7:8], v[17:18] offset0:110 offset1:165
	ds_write2_b64 v2, v[11:12], v[25:26] offset0:92 offset1:147
	;; [unrolled: 1-line block ×4, first 2 shown]
	s_waitcnt lgkmcnt(0)
	; wave barrier
	s_waitcnt lgkmcnt(0)
	ds_read_b64 v[2:3], v27
	v_lshlrev_b32_e32 v0, 3, v24
	v_sub_u32_e32 v0, 0, v0
                                        ; implicit-def: $vgpr7
                                        ; implicit-def: $vgpr6
                                        ; implicit-def: $vgpr4_vgpr5
	s_and_saveexec_b64 s[4:5], s[0:1]
	s_xor_b64 s[4:5], exec, s[4:5]
	s_cbranch_execz .LBB0_17
; %bb.16:
	v_mov_b32_e32 v25, v1
	v_lshlrev_b64 v[4:5], 3, v[24:25]
	v_mov_b32_e32 v1, s7
	v_add_co_u32_e64 v4, s[0:1], s6, v4
	v_addc_co_u32_e64 v5, s[0:1], v1, v5, s[0:1]
	global_load_dwordx2 v[4:5], v[4:5], off
	ds_read_b64 v[6:7], v0 offset:4400
	s_waitcnt lgkmcnt(0)
	v_add_f32_e32 v1, v6, v2
	v_add_f32_e32 v8, v7, v3
	v_sub_f32_e32 v2, v2, v6
	v_sub_f32_e32 v3, v3, v7
	v_mul_f32_e32 v7, 0.5, v8
	v_mul_f32_e32 v2, 0.5, v2
	;; [unrolled: 1-line block ×3, first 2 shown]
	s_waitcnt vmcnt(0)
	v_mul_f32_e32 v8, v5, v2
	v_fma_f32 v9, v7, v5, v3
	v_fma_f32 v3, v7, v5, -v3
	v_fma_f32 v6, 0.5, v1, v8
	v_fma_f32 v5, -v4, v2, v9
	v_fma_f32 v1, v1, 0.5, -v8
	v_fma_f32 v2, -v4, v2, v3
	v_fmac_f32_e32 v6, v4, v7
	ds_write_b32 v27, v5 offset:4
	v_fma_f32 v7, -v4, v7, v1
	v_mov_b32_e32 v4, v24
	ds_write_b32 v0, v2 offset:4404
	v_mov_b32_e32 v5, v25
                                        ; implicit-def: $vgpr2_vgpr3
.LBB0_17:
	s_andn2_saveexec_b64 s[0:1], s[4:5]
	s_cbranch_execz .LBB0_19
; %bb.18:
	v_mov_b32_e32 v1, 0
	ds_write_b32 v27, v1 offset:4
	ds_write_b32 v0, v1 offset:4404
	ds_read_b32 v4, v1 offset:2204
	s_waitcnt lgkmcnt(3)
	v_add_f32_e32 v6, v2, v3
	v_sub_f32_e32 v7, v2, v3
	s_waitcnt lgkmcnt(0)
	v_xor_b32_e32 v2, 0x80000000, v4
	v_mov_b32_e32 v4, 0
	v_mov_b32_e32 v5, 0
	ds_write_b32 v1, v2 offset:2204
.LBB0_19:
	s_or_b64 exec, exec, s[0:1]
	s_waitcnt lgkmcnt(0)
	v_lshlrev_b64 v[1:2], 3, v[4:5]
	v_mov_b32_e32 v3, s7
	v_add_co_u32_e64 v1, s[0:1], s6, v1
	v_addc_co_u32_e64 v2, s[0:1], v3, v2, s[0:1]
	global_load_dwordx2 v[3:4], v[1:2], off offset:440
	global_load_dwordx2 v[8:9], v[1:2], off offset:880
	;; [unrolled: 1-line block ×3, first 2 shown]
	ds_write_b32 v27, v6
	ds_write_b32 v0, v7 offset:4400
	ds_read_b64 v[5:6], v27 offset:440
	ds_read_b64 v[12:13], v0 offset:3960
	global_load_dwordx2 v[1:2], v[1:2], off offset:1760
	s_waitcnt lgkmcnt(0)
	v_add_f32_e32 v7, v5, v12
	v_sub_f32_e32 v5, v5, v12
	v_add_f32_e32 v14, v6, v13
	v_sub_f32_e32 v6, v6, v13
	v_mul_f32_e32 v5, 0.5, v5
	v_mul_f32_e32 v12, 0.5, v14
	;; [unrolled: 1-line block ×3, first 2 shown]
	s_waitcnt vmcnt(3)
	v_mul_f32_e32 v13, v4, v5
	v_fma_f32 v14, v12, v4, v6
	v_fma_f32 v4, v12, v4, -v6
	v_fma_f32 v6, 0.5, v7, v13
	v_fma_f32 v14, -v3, v5, v14
	v_fma_f32 v7, v7, 0.5, -v13
	v_fmac_f32_e32 v6, v3, v12
	v_fma_f32 v4, -v3, v5, v4
	v_fma_f32 v3, -v3, v12, v7
	ds_write2_b32 v27, v6, v14 offset0:110 offset1:111
	ds_write_b64 v0, v[3:4] offset:3960
	ds_read_b64 v[3:4], v27 offset:880
	ds_read_b64 v[5:6], v0 offset:3520
	s_waitcnt lgkmcnt(0)
	v_add_f32_e32 v7, v3, v5
	v_sub_f32_e32 v3, v3, v5
	v_add_f32_e32 v12, v4, v6
	v_sub_f32_e32 v4, v4, v6
	v_mul_f32_e32 v3, 0.5, v3
	v_mul_f32_e32 v5, 0.5, v12
	;; [unrolled: 1-line block ×3, first 2 shown]
	s_waitcnt vmcnt(2)
	v_mul_f32_e32 v6, v9, v3
	v_fma_f32 v12, v5, v9, v4
	v_fma_f32 v4, v5, v9, -v4
	v_fma_f32 v9, 0.5, v7, v6
	v_fma_f32 v12, -v8, v3, v12
	v_fma_f32 v6, v7, 0.5, -v6
	v_fmac_f32_e32 v9, v8, v5
	v_fma_f32 v4, -v8, v3, v4
	v_fma_f32 v3, -v8, v5, v6
	ds_write2_b32 v27, v9, v12 offset0:220 offset1:221
	ds_write_b64 v0, v[3:4] offset:3520
	ds_read_b64 v[3:4], v27 offset:1320
	ds_read_b64 v[5:6], v0 offset:3080
	v_add_u32_e32 v7, 0x400, v27
	s_waitcnt lgkmcnt(0)
	v_add_f32_e32 v8, v3, v5
	v_sub_f32_e32 v3, v3, v5
	v_add_f32_e32 v9, v4, v6
	v_sub_f32_e32 v4, v4, v6
	v_mul_f32_e32 v3, 0.5, v3
	v_mul_f32_e32 v5, 0.5, v9
	;; [unrolled: 1-line block ×3, first 2 shown]
	s_waitcnt vmcnt(1)
	v_mul_f32_e32 v6, v11, v3
	v_fma_f32 v9, v5, v11, v4
	v_fma_f32 v4, v5, v11, -v4
	v_fma_f32 v11, 0.5, v8, v6
	v_fma_f32 v9, -v10, v3, v9
	v_fma_f32 v6, v8, 0.5, -v6
	v_fmac_f32_e32 v11, v10, v5
	v_fma_f32 v4, -v10, v3, v4
	v_fma_f32 v3, -v10, v5, v6
	ds_write2_b32 v7, v11, v9 offset0:74 offset1:75
	ds_write_b64 v0, v[3:4] offset:3080
	ds_read_b64 v[3:4], v27 offset:1760
	ds_read_b64 v[5:6], v0 offset:2640
	s_waitcnt lgkmcnt(0)
	v_add_f32_e32 v8, v3, v5
	v_sub_f32_e32 v3, v3, v5
	v_add_f32_e32 v9, v4, v6
	v_sub_f32_e32 v4, v4, v6
	v_mul_f32_e32 v3, 0.5, v3
	v_mul_f32_e32 v5, 0.5, v9
	v_mul_f32_e32 v4, 0.5, v4
	s_waitcnt vmcnt(0)
	v_mul_f32_e32 v6, v2, v3
	v_fma_f32 v9, v5, v2, v4
	v_fma_f32 v2, v5, v2, -v4
	v_fma_f32 v4, 0.5, v8, v6
	v_fma_f32 v9, -v1, v3, v9
	v_fma_f32 v6, v8, 0.5, -v6
	v_fmac_f32_e32 v4, v1, v5
	v_fma_f32 v2, -v1, v3, v2
	v_fma_f32 v1, -v1, v5, v6
	ds_write2_b32 v7, v4, v9 offset0:184 offset1:185
	ds_write_b64 v0, v[1:2] offset:2640
	s_waitcnt lgkmcnt(0)
	; wave barrier
	s_waitcnt lgkmcnt(0)
	s_and_saveexec_b64 s[0:1], vcc
	s_cbranch_execz .LBB0_22
; %bb.20:
	v_mul_lo_u32 v2, s3, v22
	v_mul_lo_u32 v3, s2, v23
	v_mad_u64_u32 v[0:1], s[0:1], s2, v22, 0
	v_mov_b32_e32 v6, s11
	v_lshl_add_u32 v8, v24, 3, 0
	v_add3_u32 v1, v1, v3, v2
	v_lshlrev_b64 v[0:1], 3, v[0:1]
	v_mov_b32_e32 v25, 0
	v_add_co_u32_e32 v0, vcc, s10, v0
	v_addc_co_u32_e32 v9, vcc, v6, v1, vcc
	v_lshlrev_b64 v[6:7], 3, v[20:21]
	ds_read2_b64 v[2:5], v8 offset1:55
	v_add_co_u32_e32 v1, vcc, v0, v6
	v_addc_co_u32_e32 v0, vcc, v9, v7, vcc
	v_lshlrev_b64 v[6:7], 3, v[24:25]
	v_add_co_u32_e32 v6, vcc, v1, v6
	v_addc_co_u32_e32 v7, vcc, v0, v7, vcc
	s_waitcnt lgkmcnt(0)
	global_store_dwordx2 v[6:7], v[2:3], off
	v_add_u32_e32 v2, 55, v24
	v_mov_b32_e32 v3, v25
	v_lshlrev_b64 v[2:3], 3, v[2:3]
	v_add_u32_e32 v6, 0x6e, v24
	v_add_co_u32_e32 v2, vcc, v1, v2
	v_addc_co_u32_e32 v3, vcc, v0, v3, vcc
	global_store_dwordx2 v[2:3], v[4:5], off
	v_mov_b32_e32 v7, v25
	ds_read2_b64 v[2:5], v8 offset0:110 offset1:165
	v_lshlrev_b64 v[6:7], 3, v[6:7]
	v_add_co_u32_e32 v6, vcc, v1, v6
	v_addc_co_u32_e32 v7, vcc, v0, v7, vcc
	s_waitcnt lgkmcnt(0)
	global_store_dwordx2 v[6:7], v[2:3], off
	v_add_u32_e32 v2, 0xa5, v24
	v_mov_b32_e32 v3, v25
	v_lshlrev_b64 v[2:3], 3, v[2:3]
	v_add_u32_e32 v6, 0xdc, v24
	v_add_co_u32_e32 v2, vcc, v1, v2
	v_addc_co_u32_e32 v3, vcc, v0, v3, vcc
	global_store_dwordx2 v[2:3], v[4:5], off
	v_add_u32_e32 v2, 0x400, v8
	v_mov_b32_e32 v7, v25
	ds_read2_b64 v[2:5], v2 offset0:92 offset1:147
	v_lshlrev_b64 v[6:7], 3, v[6:7]
	v_add_u32_e32 v8, 0x800, v8
	v_add_co_u32_e32 v6, vcc, v1, v6
	v_addc_co_u32_e32 v7, vcc, v0, v7, vcc
	s_waitcnt lgkmcnt(0)
	global_store_dwordx2 v[6:7], v[2:3], off
	v_add_u32_e32 v2, 0x113, v24
	v_mov_b32_e32 v3, v25
	v_lshlrev_b64 v[2:3], 3, v[2:3]
	v_add_u32_e32 v6, 0x14a, v24
	v_add_co_u32_e32 v2, vcc, v1, v2
	v_addc_co_u32_e32 v3, vcc, v0, v3, vcc
	global_store_dwordx2 v[2:3], v[4:5], off
	v_mov_b32_e32 v7, v25
	ds_read2_b64 v[2:5], v8 offset0:74 offset1:129
	v_lshlrev_b64 v[6:7], 3, v[6:7]
	v_add_co_u32_e32 v6, vcc, v1, v6
	v_addc_co_u32_e32 v7, vcc, v0, v7, vcc
	s_waitcnt lgkmcnt(0)
	global_store_dwordx2 v[6:7], v[2:3], off
	v_add_u32_e32 v2, 0x181, v24
	v_mov_b32_e32 v3, v25
	v_lshlrev_b64 v[2:3], 3, v[2:3]
	v_add_u32_e32 v6, 0x1b8, v24
	v_add_co_u32_e32 v2, vcc, v1, v2
	v_addc_co_u32_e32 v3, vcc, v0, v3, vcc
	global_store_dwordx2 v[2:3], v[4:5], off
	v_mov_b32_e32 v7, v25
	ds_read2_b64 v[2:5], v8 offset0:184 offset1:239
	v_lshlrev_b64 v[6:7], 3, v[6:7]
	v_add_co_u32_e32 v6, vcc, v1, v6
	v_addc_co_u32_e32 v7, vcc, v0, v7, vcc
	s_waitcnt lgkmcnt(0)
	global_store_dwordx2 v[6:7], v[2:3], off
	v_add_u32_e32 v2, 0x1ef, v24
	v_mov_b32_e32 v3, v25
	v_lshlrev_b64 v[2:3], 3, v[2:3]
	v_add_co_u32_e32 v2, vcc, v1, v2
	v_addc_co_u32_e32 v3, vcc, v0, v3, vcc
	v_cmp_eq_u32_e32 vcc, 54, v24
	global_store_dwordx2 v[2:3], v[4:5], off
	s_and_b64 exec, exec, vcc
	s_cbranch_execz .LBB0_22
; %bb.21:
	ds_read_b64 v[2:3], v25 offset:4400
	v_add_co_u32_e32 v4, vcc, 0x1000, v1
	v_addc_co_u32_e32 v5, vcc, 0, v0, vcc
	s_waitcnt lgkmcnt(0)
	global_store_dwordx2 v[4:5], v[2:3], off offset:304
.LBB0_22:
	s_endpgm
	.section	.rodata,"a",@progbits
	.p2align	6, 0x0
	.amdhsa_kernel fft_rtc_fwd_len550_factors_11_10_5_wgs_55_tpt_55_sp_op_CI_CI_unitstride_sbrr_R2C_dirReg
		.amdhsa_group_segment_fixed_size 0
		.amdhsa_private_segment_fixed_size 0
		.amdhsa_kernarg_size 104
		.amdhsa_user_sgpr_count 6
		.amdhsa_user_sgpr_private_segment_buffer 1
		.amdhsa_user_sgpr_dispatch_ptr 0
		.amdhsa_user_sgpr_queue_ptr 0
		.amdhsa_user_sgpr_kernarg_segment_ptr 1
		.amdhsa_user_sgpr_dispatch_id 0
		.amdhsa_user_sgpr_flat_scratch_init 0
		.amdhsa_user_sgpr_private_segment_size 0
		.amdhsa_uses_dynamic_stack 0
		.amdhsa_system_sgpr_private_segment_wavefront_offset 0
		.amdhsa_system_sgpr_workgroup_id_x 1
		.amdhsa_system_sgpr_workgroup_id_y 0
		.amdhsa_system_sgpr_workgroup_id_z 0
		.amdhsa_system_sgpr_workgroup_info 0
		.amdhsa_system_vgpr_workitem_id 0
		.amdhsa_next_free_vgpr 84
		.amdhsa_next_free_sgpr 28
		.amdhsa_reserve_vcc 1
		.amdhsa_reserve_flat_scratch 0
		.amdhsa_float_round_mode_32 0
		.amdhsa_float_round_mode_16_64 0
		.amdhsa_float_denorm_mode_32 3
		.amdhsa_float_denorm_mode_16_64 3
		.amdhsa_dx10_clamp 1
		.amdhsa_ieee_mode 1
		.amdhsa_fp16_overflow 0
		.amdhsa_exception_fp_ieee_invalid_op 0
		.amdhsa_exception_fp_denorm_src 0
		.amdhsa_exception_fp_ieee_div_zero 0
		.amdhsa_exception_fp_ieee_overflow 0
		.amdhsa_exception_fp_ieee_underflow 0
		.amdhsa_exception_fp_ieee_inexact 0
		.amdhsa_exception_int_div_zero 0
	.end_amdhsa_kernel
	.text
.Lfunc_end0:
	.size	fft_rtc_fwd_len550_factors_11_10_5_wgs_55_tpt_55_sp_op_CI_CI_unitstride_sbrr_R2C_dirReg, .Lfunc_end0-fft_rtc_fwd_len550_factors_11_10_5_wgs_55_tpt_55_sp_op_CI_CI_unitstride_sbrr_R2C_dirReg
                                        ; -- End function
	.section	.AMDGPU.csdata,"",@progbits
; Kernel info:
; codeLenInByte = 7476
; NumSgprs: 32
; NumVgprs: 84
; ScratchSize: 0
; MemoryBound: 0
; FloatMode: 240
; IeeeMode: 1
; LDSByteSize: 0 bytes/workgroup (compile time only)
; SGPRBlocks: 3
; VGPRBlocks: 20
; NumSGPRsForWavesPerEU: 32
; NumVGPRsForWavesPerEU: 84
; Occupancy: 3
; WaveLimiterHint : 1
; COMPUTE_PGM_RSRC2:SCRATCH_EN: 0
; COMPUTE_PGM_RSRC2:USER_SGPR: 6
; COMPUTE_PGM_RSRC2:TRAP_HANDLER: 0
; COMPUTE_PGM_RSRC2:TGID_X_EN: 1
; COMPUTE_PGM_RSRC2:TGID_Y_EN: 0
; COMPUTE_PGM_RSRC2:TGID_Z_EN: 0
; COMPUTE_PGM_RSRC2:TIDIG_COMP_CNT: 0
	.type	__hip_cuid_1990328946685788,@object ; @__hip_cuid_1990328946685788
	.section	.bss,"aw",@nobits
	.globl	__hip_cuid_1990328946685788
__hip_cuid_1990328946685788:
	.byte	0                               ; 0x0
	.size	__hip_cuid_1990328946685788, 1

	.ident	"AMD clang version 19.0.0git (https://github.com/RadeonOpenCompute/llvm-project roc-6.4.0 25133 c7fe45cf4b819c5991fe208aaa96edf142730f1d)"
	.section	".note.GNU-stack","",@progbits
	.addrsig
	.addrsig_sym __hip_cuid_1990328946685788
	.amdgpu_metadata
---
amdhsa.kernels:
  - .args:
      - .actual_access:  read_only
        .address_space:  global
        .offset:         0
        .size:           8
        .value_kind:     global_buffer
      - .offset:         8
        .size:           8
        .value_kind:     by_value
      - .actual_access:  read_only
        .address_space:  global
        .offset:         16
        .size:           8
        .value_kind:     global_buffer
      - .actual_access:  read_only
        .address_space:  global
        .offset:         24
        .size:           8
        .value_kind:     global_buffer
      - .actual_access:  read_only
        .address_space:  global
        .offset:         32
        .size:           8
        .value_kind:     global_buffer
      - .offset:         40
        .size:           8
        .value_kind:     by_value
      - .actual_access:  read_only
        .address_space:  global
        .offset:         48
        .size:           8
        .value_kind:     global_buffer
      - .actual_access:  read_only
        .address_space:  global
        .offset:         56
        .size:           8
        .value_kind:     global_buffer
      - .offset:         64
        .size:           4
        .value_kind:     by_value
      - .actual_access:  read_only
        .address_space:  global
        .offset:         72
        .size:           8
        .value_kind:     global_buffer
      - .actual_access:  read_only
        .address_space:  global
        .offset:         80
        .size:           8
        .value_kind:     global_buffer
      - .actual_access:  read_only
        .address_space:  global
        .offset:         88
        .size:           8
        .value_kind:     global_buffer
      - .actual_access:  write_only
        .address_space:  global
        .offset:         96
        .size:           8
        .value_kind:     global_buffer
    .group_segment_fixed_size: 0
    .kernarg_segment_align: 8
    .kernarg_segment_size: 104
    .language:       OpenCL C
    .language_version:
      - 2
      - 0
    .max_flat_workgroup_size: 55
    .name:           fft_rtc_fwd_len550_factors_11_10_5_wgs_55_tpt_55_sp_op_CI_CI_unitstride_sbrr_R2C_dirReg
    .private_segment_fixed_size: 0
    .sgpr_count:     32
    .sgpr_spill_count: 0
    .symbol:         fft_rtc_fwd_len550_factors_11_10_5_wgs_55_tpt_55_sp_op_CI_CI_unitstride_sbrr_R2C_dirReg.kd
    .uniform_work_group_size: 1
    .uses_dynamic_stack: false
    .vgpr_count:     84
    .vgpr_spill_count: 0
    .wavefront_size: 64
amdhsa.target:   amdgcn-amd-amdhsa--gfx906
amdhsa.version:
  - 1
  - 2
...

	.end_amdgpu_metadata
